;; amdgpu-corpus repo=ROCm/rocFFT kind=compiled arch=gfx906 opt=O3
	.text
	.amdgcn_target "amdgcn-amd-amdhsa--gfx906"
	.amdhsa_code_object_version 6
	.protected	fft_rtc_back_len243_factors_3_3_3_3_3_wgs_216_tpt_27_dp_op_CI_CI_sbrc_z_xy_diag_dirReg ; -- Begin function fft_rtc_back_len243_factors_3_3_3_3_3_wgs_216_tpt_27_dp_op_CI_CI_sbrc_z_xy_diag_dirReg
	.globl	fft_rtc_back_len243_factors_3_3_3_3_3_wgs_216_tpt_27_dp_op_CI_CI_sbrc_z_xy_diag_dirReg
	.p2align	8
	.type	fft_rtc_back_len243_factors_3_3_3_3_3_wgs_216_tpt_27_dp_op_CI_CI_sbrc_z_xy_diag_dirReg,@function
fft_rtc_back_len243_factors_3_3_3_3_3_wgs_216_tpt_27_dp_op_CI_CI_sbrc_z_xy_diag_dirReg: ; @fft_rtc_back_len243_factors_3_3_3_3_3_wgs_216_tpt_27_dp_op_CI_CI_sbrc_z_xy_diag_dirReg
; %bb.0:
	s_load_dwordx8 s[8:15], s[4:5], 0x0
	v_mul_u32_u24_e32 v2, 0x10e, v0
	v_lshrrev_b32_e32 v39, 16, v2
	v_add_u16_e32 v5, 0xd8, v0
	v_mul_u32_u24_e32 v6, 0x10e, v5
	s_waitcnt lgkmcnt(0)
	s_load_dwordx4 s[0:3], s[12:13], 0x8
	s_mov_b32 s13, 0
	v_lshrrev_b32_e32 v41, 16, v6
	v_mul_lo_u16_e32 v6, 0xf3, v41
	v_sub_u16_e32 v42, v5, v6
	s_waitcnt lgkmcnt(0)
	s_add_i32 s0, s0, -1
	s_lshr_b32 s0, s0, 3
	s_add_i32 s0, s0, 1
	s_mul_i32 s7, s0, s2
	v_cvt_f32_u32_e32 v1, s7
	s_load_dwordx4 s[0:3], s[4:5], 0x58
	s_load_dwordx2 s[20:21], s[4:5], 0x20
	s_sub_i32 s4, 0, s7
	s_load_dwordx4 s[16:19], s[14:15], 0x0
	s_load_dword s12, s[14:15], 0x10
	v_rcp_iflag_f32_e32 v1, v1
                                        ; kill: killed $sgpr20 killed $sgpr21
	v_mul_f32_e32 v1, 0x4f7ffffe, v1
	v_cvt_u32_f32_e32 v1, v1
	v_readfirstlane_b32 s5, v1
	s_mul_i32 s4, s4, s5
	s_mul_hi_u32 s4, s5, s4
	s_add_i32 s5, s5, s4
	s_mul_hi_u32 s4, s6, s5
	s_mul_i32 s5, s4, s7
	s_sub_i32 s5, s6, s5
	s_waitcnt lgkmcnt(0)
	s_add_i32 s19, s4, 1
	s_sub_i32 s22, s5, s7
	s_cmp_ge_u32 s5, s7
	s_cselect_b32 s4, s19, s4
	s_cselect_b32 s5, s22, s5
	s_add_i32 s19, s4, 1
	s_cmp_ge_u32 s5, s7
	s_cselect_b32 s19, s19, s4
	s_mul_i32 s7, s19, s7
	s_sub_i32 s6, s6, s7
	s_mul_hi_u32 s7, s6, 0x2f684bdb
	s_lshl_b64 s[4:5], s[10:11], 3
	s_sub_i32 s10, s6, s7
	s_lshr_b32 s10, s10, 1
	s_add_i32 s10, s10, s7
	s_lshr_b32 s7, s10, 4
	s_mul_i32 s10, s7, 27
	s_sub_i32 s6, s6, s10
	s_add_i32 s7, s7, s6
	s_lshl_b32 s23, s6, 3
	s_mul_hi_u32 s6, s7, 0x86d90545
	s_lshr_b32 s6, s6, 7
	s_mulk_i32 s6, 0xf3
	s_sub_i32 s22, s7, s6
	s_mul_i32 s10, s23, s18
	s_mul_i32 s6, s22, s12
	s_add_i32 s12, s6, s10
	s_add_u32 s6, s14, s4
	s_addc_u32 s7, s15, s5
	s_load_dwordx2 s[6:7], s[6:7], 0x0
	v_mul_lo_u16_e32 v1, 0xf3, v39
	v_sub_u16_e32 v40, v0, v1
	v_mad_u64_u32 v[3:4], s[10:11], s16, v40, 0
	s_waitcnt lgkmcnt(0)
	s_mul_i32 s7, s7, s19
	s_mul_hi_u32 s10, s6, s19
	s_add_i32 s7, s10, s7
	s_add_u32 s4, s20, s4
	s_addc_u32 s5, s21, s5
	s_load_dwordx2 s[10:11], s[4:5], 0x0
	v_mov_b32_e32 v1, v4
	v_mad_u64_u32 v[1:2], s[4:5], s17, v40, v[1:2]
	s_mul_i32 s6, s6, s19
	s_waitcnt lgkmcnt(0)
	s_mul_i32 s4, s11, s19
	s_mul_hi_u32 s5, s10, s19
	s_add_i32 s11, s5, s4
	s_lshl_b64 s[4:5], s[6:7], 4
	s_add_u32 s4, s0, s4
	s_addc_u32 s5, s1, s5
	s_lshl_b64 s[0:1], s[12:13], 4
	s_add_u32 s0, s4, s0
	v_mov_b32_e32 v4, v1
	v_mul_lo_u32 v1, s18, v39
	s_addc_u32 s1, s5, s1
	v_mad_u64_u32 v[5:6], s[4:5], s16, v42, 0
	v_lshlrev_b64 v[3:4], 4, v[3:4]
	v_mov_b32_e32 v2, 0
	v_mov_b32_e32 v7, s1
	v_add_co_u32_e32 v8, vcc, s0, v3
	v_addc_co_u32_e32 v9, vcc, v7, v4, vcc
	v_lshlrev_b64 v[3:4], 4, v[1:2]
	v_mov_b32_e32 v1, v6
	v_mad_u64_u32 v[6:7], s[4:5], s17, v42, v[1:2]
	v_add_co_u32_e32 v11, vcc, v8, v3
	v_addc_co_u32_e32 v12, vcc, v9, v4, vcc
	v_lshlrev_b64 v[3:4], 4, v[5:6]
	v_add_u16_e32 v5, 0x1b0, v0
	v_mul_u32_u24_e32 v6, 0x437, v5
	v_lshrrev_b32_e32 v43, 18, v6
	v_mul_lo_u16_e32 v6, 0xf3, v43
	v_sub_u16_e32 v44, v5, v6
	v_mul_lo_u32 v1, s18, v41
	v_mad_u64_u32 v[5:6], s[4:5], s16, v44, 0
	v_mov_b32_e32 v7, s1
	v_add_co_u32_e32 v8, vcc, s0, v3
	v_addc_co_u32_e32 v9, vcc, v7, v4, vcc
	v_lshlrev_b64 v[3:4], 4, v[1:2]
	v_mov_b32_e32 v1, v6
	v_mad_u64_u32 v[6:7], s[4:5], s17, v44, v[1:2]
	v_add_co_u32_e32 v13, vcc, v8, v3
	v_addc_co_u32_e32 v14, vcc, v9, v4, vcc
	v_lshlrev_b64 v[15:16], 4, v[5:6]
	global_load_dwordx4 v[3:6], v[11:12], off
	global_load_dwordx4 v[7:10], v[13:14], off
	v_add_u16_e32 v11, 0x288, v0
	v_mul_u32_u24_e32 v12, 0x437, v11
	v_lshrrev_b32_e32 v45, 18, v12
	v_mul_lo_u16_e32 v12, 0xf3, v45
	v_sub_u16_e32 v46, v11, v12
	v_mul_lo_u32 v1, s18, v43
	v_mad_u64_u32 v[11:12], s[4:5], s16, v46, 0
	v_mov_b32_e32 v17, s1
	v_add_co_u32_e32 v18, vcc, s0, v15
	v_lshlrev_b64 v[13:14], 4, v[1:2]
	v_mov_b32_e32 v1, v12
	v_addc_co_u32_e32 v17, vcc, v17, v16, vcc
	v_mad_u64_u32 v[15:16], s[4:5], s17, v46, v[1:2]
	v_add_co_u32_e32 v19, vcc, v18, v13
	v_addc_co_u32_e32 v20, vcc, v17, v14, vcc
	v_add_u16_e32 v14, 0x360, v0
	v_mov_b32_e32 v12, v15
	v_mul_u32_u24_e32 v15, 0x437, v14
	v_lshrrev_b32_e32 v47, 18, v15
	v_mul_lo_u16_e32 v15, 0xf3, v47
	v_sub_u16_e32 v48, v14, v15
	v_mul_lo_u32 v1, s18, v45
	v_mad_u64_u32 v[21:22], s[4:5], s16, v48, 0
	v_lshlrev_b64 v[11:12], 4, v[11:12]
	v_mov_b32_e32 v13, s1
	v_add_co_u32_e32 v14, vcc, s0, v11
	v_addc_co_u32_e32 v13, vcc, v13, v12, vcc
	v_lshlrev_b64 v[11:12], 4, v[1:2]
	v_mov_b32_e32 v1, v22
	v_mad_u64_u32 v[22:23], s[4:5], s17, v48, v[1:2]
	v_add_co_u32_e32 v23, vcc, v14, v11
	v_addc_co_u32_e32 v24, vcc, v13, v12, vcc
	global_load_dwordx4 v[11:14], v[19:20], off
	global_load_dwordx4 v[15:18], v[23:24], off
	v_lshlrev_b64 v[19:20], 4, v[21:22]
	v_add_u16_e32 v21, 0x438, v0
	v_mul_u32_u24_e32 v22, 0x437, v21
	v_lshrrev_b32_e32 v49, 18, v22
	v_mul_lo_u16_e32 v22, 0xf3, v49
	v_sub_u16_e32 v50, v21, v22
	v_mul_lo_u32 v1, s18, v47
	v_mad_u64_u32 v[21:22], s[4:5], s16, v50, 0
	v_mov_b32_e32 v23, s1
	v_add_co_u32_e32 v24, vcc, s0, v19
	v_addc_co_u32_e32 v25, vcc, v23, v20, vcc
	v_lshlrev_b64 v[19:20], 4, v[1:2]
	v_mov_b32_e32 v1, v22
	v_mad_u64_u32 v[22:23], s[4:5], s17, v50, v[1:2]
	v_add_co_u32_e32 v27, vcc, v24, v19
	v_addc_co_u32_e32 v28, vcc, v25, v20, vcc
	v_lshlrev_b64 v[19:20], 4, v[21:22]
	v_add_u16_e32 v22, 0x510, v0
	v_mul_u32_u24_e32 v23, 0x437, v22
	v_lshrrev_b32_e32 v51, 18, v23
	v_mul_lo_u16_e32 v23, 0xf3, v51
	v_sub_u16_e32 v52, v22, v23
	v_mul_lo_u32 v1, s18, v49
	v_mad_u64_u32 v[29:30], s[4:5], s16, v52, 0
	v_mov_b32_e32 v21, s1
	v_add_co_u32_e32 v22, vcc, s0, v19
	v_addc_co_u32_e32 v21, vcc, v21, v20, vcc
	v_lshlrev_b64 v[19:20], 4, v[1:2]
	v_mov_b32_e32 v1, v30
	v_mad_u64_u32 v[30:31], s[4:5], s17, v52, v[1:2]
	v_add_co_u32_e32 v31, vcc, v22, v19
	v_addc_co_u32_e32 v32, vcc, v21, v20, vcc
	global_load_dwordx4 v[19:22], v[27:28], off
	global_load_dwordx4 v[23:26], v[31:32], off
	v_lshlrev_b64 v[27:28], 4, v[29:30]
	v_add_u16_e32 v29, 0x5e8, v0
	v_mul_u32_u24_e32 v30, 0x437, v29
	v_lshrrev_b32_e32 v53, 18, v30
	v_mul_lo_u16_e32 v30, 0xf3, v53
	v_sub_u16_e32 v54, v29, v30
	v_mul_lo_u32 v1, s18, v51
	v_mad_u64_u32 v[29:30], s[4:5], s16, v54, 0
	v_mov_b32_e32 v31, s1
	v_add_co_u32_e32 v32, vcc, s0, v27
	v_addc_co_u32_e32 v33, vcc, v31, v28, vcc
	v_lshlrev_b64 v[27:28], 4, v[1:2]
	v_mov_b32_e32 v1, v30
	v_mad_u64_u32 v[30:31], s[4:5], s17, v54, v[1:2]
	v_add_u16_e32 v31, 0x6c0, v0
	v_add_co_u32_e32 v27, vcc, v32, v27
	v_mul_u32_u24_e32 v32, 0x437, v31
	v_lshrrev_b32_e32 v55, 18, v32
	v_mul_lo_u16_e32 v32, 0xf3, v55
	v_sub_u16_e32 v56, v31, v32
	v_mul_lo_u32 v1, s18, v53
	v_mad_u64_u32 v[31:32], s[4:5], s16, v56, 0
	v_lshlrev_b64 v[29:30], 4, v[29:30]
	v_addc_co_u32_e32 v28, vcc, v33, v28, vcc
	v_mov_b32_e32 v33, s1
	v_add_co_u32_e32 v34, vcc, s0, v29
	v_addc_co_u32_e32 v35, vcc, v33, v30, vcc
	v_lshlrev_b64 v[29:30], 4, v[1:2]
	v_mov_b32_e32 v1, v32
	v_mad_u64_u32 v[32:33], s[4:5], s17, v56, v[1:2]
	v_mul_lo_u32 v1, s18, v55
	v_add_co_u32_e32 v33, vcc, v34, v29
	v_lshlrev_b64 v[31:32], 4, v[31:32]
	v_addc_co_u32_e32 v34, vcc, v35, v30, vcc
	global_load_dwordx4 v[27:30], v[27:28], off
	v_mov_b32_e32 v35, s1
	v_add_co_u32_e32 v37, vcc, s0, v31
	v_addc_co_u32_e32 v38, vcc, v35, v32, vcc
	global_load_dwordx4 v[31:34], v[33:34], off
	v_lshlrev_b64 v[35:36], 4, v[1:2]
	v_lshlrev_b16_e32 v1, 3, v40
	v_add_co_u32_e32 v35, vcc, v37, v35
	v_addc_co_u32_e32 v36, vcc, v38, v36, vcc
	global_load_dwordx4 v[35:38], v[35:36], off
	v_or_b32_e32 v1, v1, v39
	v_and_b32_e32 v1, 0xffff, v1
	v_lshl_add_u32 v1, v1, 4, 0
	s_waitcnt vmcnt(8)
	ds_write_b128 v1, v[3:6]
	v_lshlrev_b16_e32 v1, 3, v42
	v_or_b32_e32 v1, v1, v41
	v_and_b32_e32 v1, 0xffff, v1
	v_lshl_add_u32 v1, v1, 4, 0
	s_waitcnt vmcnt(7)
	ds_write_b128 v1, v[7:10]
	v_lshlrev_b16_e32 v1, 3, v44
	;; [unrolled: 6-line block ×4, first 2 shown]
	v_add_u16_e32 v1, v1, v47
	v_lshl_add_u32 v1, v1, 4, 0
	s_waitcnt vmcnt(4)
	ds_write_b128 v1, v[19:22]
	v_lshlrev_b16_e32 v1, 3, v50
	v_or_b32_e32 v1, v1, v49
	v_and_b32_e32 v1, 0xffff, v1
	v_lshl_add_u32 v1, v1, 4, 0
	s_waitcnt vmcnt(3)
	ds_write_b128 v1, v[23:26]
	v_lshlrev_b16_e32 v1, 3, v52
	v_add_u16_e32 v1, v1, v51
	v_lshl_add_u32 v1, v1, 4, 0
	v_and_b32_e32 v3, 7, v0
	v_lshrrev_b32_e32 v5, 3, v0
	v_lshlrev_b32_e32 v4, 7, v5
	s_load_dwordx4 s[4:7], s[20:21], 0x0
	s_waitcnt lgkmcnt(0)
	s_load_dword s7, s[20:21], 0x10
	s_mov_b32 s0, 0xe8584caa
	s_mov_b32 s1, 0xbfebb67a
	;; [unrolled: 1-line block ×4, first 2 shown]
	s_movk_i32 s12, 0x288
	v_cmp_gt_u32_e32 vcc, s12, v0
	s_movk_i32 s12, 0x1b0
	s_mul_i32 s10, s10, s19
	s_waitcnt vmcnt(2)
	ds_write_b128 v1, v[27:30]
	v_lshlrev_b16_e32 v1, 3, v54
	v_add_u16_e32 v1, v1, v53
	v_lshl_add_u32 v1, v1, 4, 0
	s_waitcnt vmcnt(1)
	ds_write_b128 v1, v[31:34]
	v_lshlrev_b16_e32 v1, 3, v56
	v_add_u16_e32 v1, v1, v55
	v_lshl_add_u32 v1, v1, 4, 0
	s_waitcnt vmcnt(0)
	ds_write_b128 v1, v[35:38]
	v_lshlrev_b32_e32 v1, 4, v3
	v_add3_u32 v4, 0, v4, v1
	s_waitcnt lgkmcnt(0)
	s_barrier
	ds_read_b128 v[6:9], v4 offset:10368
	ds_read_b128 v[10:13], v4
	ds_read_b128 v[14:17], v4 offset:3456
	ds_read_b128 v[18:21], v4 offset:6912
	;; [unrolled: 1-line block ×5, first 2 shown]
	s_waitcnt lgkmcnt(5)
	v_add_f64 v[38:39], v[10:11], v[6:7]
	v_add_f64 v[40:41], v[12:13], v[8:9]
	ds_read_b128 v[34:37], v4 offset:24192
	s_waitcnt lgkmcnt(3)
	v_add_f64 v[42:43], v[14:15], v[22:23]
	v_add_f64 v[44:45], v[16:17], v[24:25]
	s_waitcnt lgkmcnt(2)
	v_add_f64 v[46:47], v[6:7], v[26:27]
	v_add_f64 v[48:49], v[8:9], -v[28:29]
	v_add_f64 v[50:51], v[8:9], v[28:29]
	v_add_f64 v[38:39], v[38:39], v[26:27]
	;; [unrolled: 1-line block ×3, first 2 shown]
	v_add_f64 v[52:53], v[6:7], -v[26:27]
	s_waitcnt lgkmcnt(1)
	v_add_f64 v[26:27], v[18:19], v[30:31]
	v_add_f64 v[28:29], v[20:21], v[32:33]
	s_waitcnt lgkmcnt(0)
	v_add_f64 v[6:7], v[42:43], v[34:35]
	v_add_f64 v[8:9], v[44:45], v[36:37]
	;; [unrolled: 1-line block ×3, first 2 shown]
	v_add_f64 v[44:45], v[24:25], -v[36:37]
	v_add_f64 v[36:37], v[24:25], v[36:37]
	v_add_f64 v[34:35], v[22:23], -v[34:35]
	ds_read_b128 v[22:25], v4 offset:27648
	s_waitcnt lgkmcnt(0)
	s_barrier
	v_or_b32_e32 v3, s23, v3
	v_add_f64 v[54:55], v[30:31], v[22:23]
	v_add_f64 v[58:59], v[32:33], v[24:25]
	;; [unrolled: 1-line block ×4, first 2 shown]
	v_add_f64 v[56:57], v[32:33], -v[24:25]
	v_add_f64 v[60:61], v[30:31], -v[22:23]
	v_fma_f64 v[22:23], v[46:47], -0.5, v[10:11]
	v_fma_f64 v[24:25], v[50:51], -0.5, v[12:13]
	;; [unrolled: 1-line block ×6, first 2 shown]
	v_lshl_add_u32 v58, v5, 8, v4
	v_mul_lo_u16_e32 v59, 0x56, v5
	v_fma_f64 v[10:11], v[48:49], s[0:1], v[22:23]
	v_fma_f64 v[12:13], v[52:53], s[14:15], v[24:25]
	;; [unrolled: 1-line block ×4, first 2 shown]
	ds_write_b128 v58, v[38:41]
	ds_write_b128 v58, v[10:13] offset:128
	v_fma_f64 v[10:11], v[56:57], s[0:1], v[18:19]
	v_fma_f64 v[12:13], v[56:57], s[14:15], v[18:19]
	;; [unrolled: 1-line block ×8, first 2 shown]
	ds_write_b128 v58, v[14:17] offset:256
	ds_write_b128 v58, v[6:9] offset:10368
	;; [unrolled: 1-line block ×5, first 2 shown]
	v_add_u32_e32 v6, 0x5000, v58
	v_mov_b32_e32 v24, 3
	ds_write2_b64 v6, v[10:11], v[18:19] offset0:48 offset1:49
	ds_write2_b64 v6, v[12:13], v[20:21] offset0:64 offset1:65
	v_mul_lo_u16_sdwa v6, v59, v24 dst_sel:DWORD dst_unused:UNUSED_PAD src0_sel:BYTE_1 src1_sel:DWORD
	v_sub_u16_e32 v6, v5, v6
	v_and_b32_e32 v60, 0xff, v6
	v_lshlrev_b32_e32 v6, 5, v60
	s_waitcnt lgkmcnt(0)
	s_barrier
	global_load_dwordx4 v[8:11], v6, s[8:9]
	global_load_dwordx4 v[12:15], v6, s[8:9] offset:16
	v_add_u32_e32 v7, 27, v5
	v_mul_lo_u16_e32 v61, 0x56, v7
	v_mul_lo_u16_sdwa v6, v61, v24 dst_sel:DWORD dst_unused:UNUSED_PAD src0_sel:BYTE_1 src1_sel:DWORD
	v_sub_u16_e32 v6, v7, v6
	v_and_b32_e32 v62, 0xff, v6
	v_lshlrev_b32_e32 v6, 5, v62
	global_load_dwordx4 v[16:19], v6, s[8:9]
	global_load_dwordx4 v[20:23], v6, s[8:9] offset:16
	v_add_u32_e32 v6, 54, v5
	v_mul_lo_u16_e32 v63, 0x56, v6
	v_mul_lo_u16_sdwa v24, v63, v24 dst_sel:DWORD dst_unused:UNUSED_PAD src0_sel:BYTE_1 src1_sel:DWORD
	v_sub_u16_e32 v24, v6, v24
	v_and_b32_e32 v64, 0xff, v24
	v_lshlrev_b32_e32 v32, 5, v64
	global_load_dwordx4 v[24:27], v32, s[8:9]
	global_load_dwordx4 v[28:31], v32, s[8:9] offset:16
	ds_read_b128 v[32:35], v4 offset:10368
	ds_read_b128 v[36:39], v4
	ds_read_b128 v[40:43], v4 offset:20736
	s_waitcnt vmcnt(5) lgkmcnt(2)
	v_mul_f64 v[44:45], v[34:35], v[10:11]
	v_mul_f64 v[10:11], v[32:33], v[10:11]
	v_fma_f64 v[44:45], v[32:33], v[8:9], v[44:45]
	v_fma_f64 v[46:47], v[34:35], v[8:9], -v[10:11]
	ds_read_b128 v[8:11], v4 offset:24192
	s_waitcnt vmcnt(4) lgkmcnt(1)
	v_mul_f64 v[48:49], v[42:43], v[14:15]
	v_mul_f64 v[14:15], v[40:41], v[14:15]
	ds_read_b128 v[32:35], v4 offset:13824
	v_fma_f64 v[40:41], v[40:41], v[12:13], v[48:49]
	v_fma_f64 v[42:43], v[42:43], v[12:13], -v[14:15]
	ds_read_b128 v[12:15], v4 offset:17280
	s_waitcnt vmcnt(3) lgkmcnt(1)
	v_mul_f64 v[48:49], v[34:35], v[18:19]
	v_mul_f64 v[18:19], v[32:33], v[18:19]
	v_fma_f64 v[32:33], v[32:33], v[16:17], v[48:49]
	v_fma_f64 v[34:35], v[34:35], v[16:17], -v[18:19]
	s_waitcnt vmcnt(2)
	v_mul_f64 v[16:17], v[10:11], v[22:23]
	v_mul_f64 v[18:19], v[8:9], v[22:23]
	s_waitcnt vmcnt(1) lgkmcnt(0)
	v_mul_f64 v[22:23], v[14:15], v[26:27]
	v_mul_f64 v[26:27], v[12:13], v[26:27]
	v_fma_f64 v[48:49], v[8:9], v[20:21], v[16:17]
	v_fma_f64 v[50:51], v[10:11], v[20:21], -v[18:19]
	v_fma_f64 v[52:53], v[12:13], v[24:25], v[22:23]
	ds_read_b128 v[10:13], v4 offset:27648
	v_add_u32_e32 v8, 0x2880, v58
	v_lshlrev_b32_e32 v9, 8, v7
	v_sub_u32_e32 v9, v8, v9
	v_fma_f64 v[54:55], v[14:15], v[24:25], -v[26:27]
	ds_read_b128 v[14:17], v9
	s_waitcnt vmcnt(0) lgkmcnt(1)
	v_mul_f64 v[18:19], v[12:13], v[30:31]
	v_mul_f64 v[20:21], v[10:11], v[30:31]
	v_add_f64 v[22:23], v[44:45], v[40:41]
	v_add_f64 v[26:27], v[44:45], -v[40:41]
	v_add_u32_e32 v8, 0x5100, v58
	v_mul_lo_u16_e32 v58, 29, v5
	v_fma_f64 v[30:31], v[10:11], v[28:29], v[18:19]
	v_add_f64 v[10:11], v[46:47], v[42:43]
	v_fma_f64 v[56:57], v[12:13], v[28:29], -v[20:21]
	v_fma_f64 v[20:21], v[22:23], -0.5, v[36:37]
	v_add_f64 v[12:13], v[38:39], v[46:47]
	v_add_f64 v[18:19], v[36:37], v[44:45]
	v_add_f64 v[22:23], v[46:47], -v[42:43]
	v_add_f64 v[36:37], v[32:33], v[48:49]
	v_fma_f64 v[24:25], v[10:11], -0.5, v[38:39]
	v_add_f64 v[38:39], v[34:35], v[50:51]
	v_add_f64 v[12:13], v[12:13], v[42:43]
	;; [unrolled: 1-line block ×3, first 2 shown]
	v_fma_f64 v[18:19], v[22:23], s[0:1], v[20:21]
	v_fma_f64 v[22:23], v[22:23], s[14:15], v[20:21]
	v_mov_b32_e32 v40, 9
	v_fma_f64 v[20:21], v[26:27], s[14:15], v[24:25]
	v_fma_f64 v[24:25], v[26:27], s[0:1], v[24:25]
	v_lshlrev_b32_e32 v26, 8, v6
	v_sub_u32_e32 v8, v8, v26
	v_mul_u32_u24_sdwa v26, v59, v40 dst_sel:DWORD dst_unused:UNUSED_PAD src0_sel:BYTE_1 src1_sel:DWORD
	v_add_lshl_u32 v41, v26, v60, 7
	v_add3_u32 v41, 0, v41, v1
	ds_read2_b64 v[26:29], v8 offset1:1
	s_waitcnt lgkmcnt(0)
	s_barrier
	ds_write_b128 v41, v[10:13]
	v_add_f64 v[10:11], v[16:17], v[34:35]
	v_fma_f64 v[36:37], v[36:37], -0.5, v[14:15]
	v_add_f64 v[14:15], v[14:15], v[32:33]
	ds_write_b128 v41, v[18:21] offset:384
	v_fma_f64 v[20:21], v[38:39], -0.5, v[16:17]
	v_add_f64 v[32:33], v[32:33], -v[48:49]
	ds_write_b128 v41, v[22:25] offset:768
	v_add_f64 v[22:23], v[52:53], v[30:31]
	v_add_f64 v[34:35], v[34:35], -v[50:51]
	v_add_f64 v[24:25], v[54:55], v[56:57]
	v_add_f64 v[12:13], v[10:11], v[50:51]
	;; [unrolled: 1-line block ×3, first 2 shown]
	v_mul_u32_u24_sdwa v38, v61, v40 dst_sel:DWORD dst_unused:UNUSED_PAD src0_sel:BYTE_1 src1_sel:DWORD
	v_fma_f64 v[16:17], v[32:33], s[14:15], v[20:21]
	v_fma_f64 v[20:21], v[32:33], s[0:1], v[20:21]
	v_fma_f64 v[32:33], v[22:23], -0.5, v[26:27]
	v_add_f64 v[22:23], v[28:29], v[54:55]
	v_add_f64 v[26:27], v[26:27], v[52:53]
	v_fma_f64 v[14:15], v[34:35], s[0:1], v[36:37]
	v_fma_f64 v[18:19], v[34:35], s[14:15], v[36:37]
	v_add_f64 v[34:35], v[54:55], -v[56:57]
	v_fma_f64 v[28:29], v[24:25], -0.5, v[28:29]
	v_add_f64 v[36:37], v[52:53], -v[30:31]
	v_add_lshl_u32 v24, v38, v62, 7
	v_add3_u32 v38, 0, v24, v1
	ds_write_b128 v38, v[10:13]
	v_add_f64 v[12:13], v[22:23], v[56:57]
	v_add_f64 v[10:11], v[26:27], v[30:31]
	v_fma_f64 v[22:23], v[34:35], s[0:1], v[32:33]
	v_fma_f64 v[26:27], v[34:35], s[14:15], v[32:33]
	;; [unrolled: 1-line block ×4, first 2 shown]
	ds_write_b128 v38, v[14:17] offset:384
	ds_write_b128 v38, v[18:21] offset:768
	v_mul_u32_u24_sdwa v14, v63, v40 dst_sel:DWORD dst_unused:UNUSED_PAD src0_sel:BYTE_1 src1_sel:DWORD
	v_add_lshl_u32 v14, v14, v64, 7
	v_add3_u32 v14, 0, v14, v1
	ds_write_b128 v14, v[10:13]
	ds_write_b128 v14, v[22:25] offset:384
	ds_write_b128 v14, v[26:29] offset:768
	v_mul_lo_u16_sdwa v10, v58, v40 dst_sel:DWORD dst_unused:UNUSED_PAD src0_sel:BYTE_1 src1_sel:DWORD
	v_sub_u16_e32 v10, v5, v10
	v_and_b32_e32 v59, 0xff, v10
	v_lshlrev_b32_e32 v18, 5, v59
	s_waitcnt lgkmcnt(0)
	s_barrier
	global_load_dwordx4 v[10:13], v18, s[8:9] offset:96
	global_load_dwordx4 v[14:17], v18, s[8:9] offset:112
	v_mul_lo_u16_e32 v18, 57, v7
	v_lshrrev_b16_e32 v60, 9, v18
	v_mul_lo_u16_e32 v18, 9, v60
	v_sub_u16_e32 v18, v7, v18
	v_and_b32_e32 v61, 0xff, v18
	v_lshlrev_b32_e32 v44, 5, v61
	global_load_dwordx4 v[18:21], v44, s[8:9] offset:96
	ds_read_b128 v[22:25], v4 offset:10368
	ds_read_b128 v[26:29], v4 offset:20736
	ds_read_b128 v[30:33], v4
	ds_read_b128 v[34:37], v4 offset:24192
	s_waitcnt vmcnt(2) lgkmcnt(3)
	v_mul_f64 v[38:39], v[24:25], v[12:13]
	v_mul_f64 v[12:13], v[22:23], v[12:13]
	s_waitcnt vmcnt(1) lgkmcnt(2)
	v_mul_f64 v[40:41], v[28:29], v[16:17]
	v_mul_f64 v[16:17], v[26:27], v[16:17]
	v_fma_f64 v[38:39], v[22:23], v[10:11], v[38:39]
	v_fma_f64 v[42:43], v[24:25], v[10:11], -v[12:13]
	v_fma_f64 v[40:41], v[26:27], v[14:15], v[40:41]
	global_load_dwordx4 v[10:13], v44, s[8:9] offset:112
	v_fma_f64 v[44:45], v[28:29], v[14:15], -v[16:17]
	v_mul_lo_u16_e32 v14, 57, v6
	v_lshrrev_b16_e32 v62, 9, v14
	v_mul_lo_u16_e32 v14, 9, v62
	v_sub_u16_e32 v22, v6, v14
	ds_read_b128 v[14:17], v4 offset:13824
	v_and_b32_e32 v63, 0xff, v22
	ds_read_b128 v[22:25], v4 offset:17280
	v_lshlrev_b32_e32 v50, 5, v63
	global_load_dwordx4 v[26:29], v50, s[8:9] offset:96
	s_waitcnt vmcnt(2) lgkmcnt(1)
	v_mul_f64 v[46:47], v[16:17], v[20:21]
	v_mul_f64 v[20:21], v[14:15], v[20:21]
	v_fma_f64 v[46:47], v[14:15], v[18:19], v[46:47]
	v_fma_f64 v[48:49], v[16:17], v[18:19], -v[20:21]
	global_load_dwordx4 v[14:17], v50, s[8:9] offset:112
	s_waitcnt vmcnt(2)
	v_mul_f64 v[18:19], v[36:37], v[12:13]
	v_mul_f64 v[12:13], v[34:35], v[12:13]
	v_fma_f64 v[34:35], v[34:35], v[10:11], v[18:19]
	v_fma_f64 v[36:37], v[36:37], v[10:11], -v[12:13]
	s_waitcnt vmcnt(1) lgkmcnt(0)
	v_mul_f64 v[18:19], v[24:25], v[28:29]
	v_mul_f64 v[20:21], v[22:23], v[28:29]
	ds_read_b128 v[10:13], v4 offset:27648
	v_fma_f64 v[50:51], v[22:23], v[26:27], v[18:19]
	v_fma_f64 v[52:53], v[24:25], v[26:27], -v[20:21]
	ds_read_b128 v[18:21], v9
	s_waitcnt vmcnt(0) lgkmcnt(1)
	v_mul_f64 v[22:23], v[12:13], v[16:17]
	v_mul_f64 v[16:17], v[10:11], v[16:17]
	v_add_f64 v[24:25], v[38:39], v[40:41]
	v_add_f64 v[26:27], v[38:39], -v[40:41]
	v_fma_f64 v[54:55], v[10:11], v[14:15], v[22:23]
	v_add_f64 v[10:11], v[42:43], v[44:45]
	v_fma_f64 v[56:57], v[12:13], v[14:15], -v[16:17]
	v_fma_f64 v[16:17], v[24:25], -0.5, v[30:31]
	v_add_f64 v[12:13], v[32:33], v[42:43]
	v_add_f64 v[14:15], v[30:31], v[38:39]
	v_add_f64 v[22:23], v[42:43], -v[44:45]
	v_add_f64 v[30:31], v[46:47], v[34:35]
	v_fma_f64 v[24:25], v[10:11], -0.5, v[32:33]
	v_add_f64 v[32:33], v[48:49], v[36:37]
	v_add_f64 v[12:13], v[12:13], v[44:45]
	;; [unrolled: 1-line block ×3, first 2 shown]
	v_fma_f64 v[14:15], v[22:23], s[0:1], v[16:17]
	v_fma_f64 v[22:23], v[22:23], s[14:15], v[16:17]
	s_waitcnt lgkmcnt(0)
	v_fma_f64 v[30:31], v[30:31], -0.5, v[18:19]
	v_fma_f64 v[16:17], v[26:27], s[14:15], v[24:25]
	v_fma_f64 v[24:25], v[26:27], s[0:1], v[24:25]
	v_mov_b32_e32 v26, 27
	v_mul_u32_u24_sdwa v26, v58, v26 dst_sel:DWORD dst_unused:UNUSED_PAD src0_sel:BYTE_1 src1_sel:DWORD
	v_add_lshl_u32 v38, v26, v59, 7
	v_add3_u32 v40, 0, v38, v1
	ds_read2_b64 v[26:29], v8 offset1:1
	s_waitcnt lgkmcnt(0)
	s_barrier
	ds_write_b128 v40, v[10:13]
	v_add_f64 v[10:11], v[20:21], v[48:49]
	v_add_f64 v[18:19], v[18:19], v[46:47]
	v_add_f64 v[38:39], v[48:49], -v[36:37]
	ds_write_b128 v40, v[22:25] offset:2304
	v_add_f64 v[22:23], v[50:51], v[54:55]
	v_fma_f64 v[20:21], v[32:33], -0.5, v[20:21]
	v_add_f64 v[32:33], v[46:47], -v[34:35]
	v_add_f64 v[24:25], v[52:53], v[56:57]
	ds_write_b128 v40, v[14:17] offset:1152
	v_add_f64 v[12:13], v[10:11], v[36:37]
	v_add_f64 v[10:11], v[18:19], v[34:35]
	v_fma_f64 v[14:15], v[38:39], s[0:1], v[30:31]
	v_fma_f64 v[18:19], v[38:39], s[14:15], v[30:31]
	v_fma_f64 v[30:31], v[22:23], -0.5, v[26:27]
	v_add_f64 v[22:23], v[28:29], v[52:53]
	v_add_f64 v[26:27], v[26:27], v[50:51]
	v_fma_f64 v[16:17], v[32:33], s[14:15], v[20:21]
	v_fma_f64 v[20:21], v[32:33], s[0:1], v[20:21]
	v_add_f64 v[32:33], v[52:53], -v[56:57]
	v_fma_f64 v[28:29], v[24:25], -0.5, v[28:29]
	v_add_f64 v[34:35], v[50:51], -v[54:55]
	v_mul_u32_u24_e32 v36, 27, v60
	v_add_lshl_u32 v24, v36, v61, 7
	v_add3_u32 v36, 0, v24, v1
	ds_write_b128 v36, v[10:13]
	v_add_f64 v[12:13], v[22:23], v[56:57]
	v_add_f64 v[10:11], v[26:27], v[54:55]
	v_fma_f64 v[22:23], v[32:33], s[0:1], v[30:31]
	v_fma_f64 v[24:25], v[34:35], s[14:15], v[28:29]
	;; [unrolled: 1-line block ×4, first 2 shown]
	ds_write_b128 v36, v[14:17] offset:1152
	ds_write_b128 v36, v[18:21] offset:2304
	v_mul_u32_u24_e32 v14, 27, v62
	v_add_lshl_u32 v14, v14, v63, 7
	v_add3_u32 v14, 0, v14, v1
	ds_write_b128 v14, v[10:13]
	ds_write_b128 v14, v[22:25] offset:1152
	ds_write_b128 v14, v[26:29] offset:2304
	v_mul_lo_u16_e32 v10, 19, v5
	v_lshrrev_b16_e32 v58, 9, v10
	v_mul_lo_u16_e32 v10, 27, v58
	v_sub_u16_e32 v10, v5, v10
	v_and_b32_e32 v59, 0xff, v10
	v_lshlrev_b32_e32 v18, 5, v59
	s_waitcnt lgkmcnt(0)
	s_barrier
	global_load_dwordx4 v[10:13], v18, s[8:9] offset:384
	global_load_dwordx4 v[14:17], v18, s[8:9] offset:400
	v_mul_lo_u16_e32 v18, 19, v7
	v_lshrrev_b16_e32 v60, 9, v18
	v_mul_lo_u16_e32 v18, 27, v60
	v_sub_u16_e32 v18, v7, v18
	v_and_b32_e32 v61, 0xff, v18
	v_lshlrev_b32_e32 v44, 5, v61
	global_load_dwordx4 v[18:21], v44, s[8:9] offset:384
	ds_read_b128 v[22:25], v4 offset:10368
	ds_read_b128 v[26:29], v4 offset:20736
	ds_read_b128 v[30:33], v4
	ds_read_b128 v[34:37], v4 offset:24192
	s_waitcnt vmcnt(2) lgkmcnt(3)
	v_mul_f64 v[38:39], v[24:25], v[12:13]
	v_mul_f64 v[12:13], v[22:23], v[12:13]
	s_waitcnt vmcnt(1) lgkmcnt(2)
	v_mul_f64 v[40:41], v[28:29], v[16:17]
	v_mul_f64 v[16:17], v[26:27], v[16:17]
	v_fma_f64 v[38:39], v[22:23], v[10:11], v[38:39]
	v_fma_f64 v[42:43], v[24:25], v[10:11], -v[12:13]
	v_fma_f64 v[40:41], v[26:27], v[14:15], v[40:41]
	global_load_dwordx4 v[10:13], v44, s[8:9] offset:400
	v_fma_f64 v[44:45], v[28:29], v[14:15], -v[16:17]
	v_mul_lo_u16_e32 v14, 19, v6
	v_lshrrev_b16_e32 v62, 9, v14
	v_mul_lo_u16_e32 v14, 27, v62
	v_sub_u16_e32 v22, v6, v14
	ds_read_b128 v[14:17], v4 offset:13824
	v_and_b32_e32 v63, 0xff, v22
	ds_read_b128 v[22:25], v4 offset:17280
	v_lshlrev_b32_e32 v50, 5, v63
	global_load_dwordx4 v[26:29], v50, s[8:9] offset:384
	s_waitcnt vmcnt(2) lgkmcnt(1)
	v_mul_f64 v[46:47], v[16:17], v[20:21]
	v_mul_f64 v[20:21], v[14:15], v[20:21]
	v_fma_f64 v[46:47], v[14:15], v[18:19], v[46:47]
	v_fma_f64 v[48:49], v[16:17], v[18:19], -v[20:21]
	global_load_dwordx4 v[14:17], v50, s[8:9] offset:400
	s_waitcnt vmcnt(2)
	v_mul_f64 v[18:19], v[36:37], v[12:13]
	v_mul_f64 v[12:13], v[34:35], v[12:13]
	v_fma_f64 v[34:35], v[34:35], v[10:11], v[18:19]
	v_fma_f64 v[36:37], v[36:37], v[10:11], -v[12:13]
	s_waitcnt vmcnt(1) lgkmcnt(0)
	v_mul_f64 v[18:19], v[24:25], v[28:29]
	v_mul_f64 v[20:21], v[22:23], v[28:29]
	ds_read_b128 v[10:13], v4 offset:27648
	v_fma_f64 v[50:51], v[22:23], v[26:27], v[18:19]
	v_fma_f64 v[52:53], v[24:25], v[26:27], -v[20:21]
	ds_read_b128 v[18:21], v9
	s_waitcnt vmcnt(0) lgkmcnt(1)
	v_mul_f64 v[22:23], v[12:13], v[16:17]
	v_mul_f64 v[16:17], v[10:11], v[16:17]
	v_add_f64 v[24:25], v[38:39], v[40:41]
	v_add_f64 v[26:27], v[38:39], -v[40:41]
	v_fma_f64 v[54:55], v[10:11], v[14:15], v[22:23]
	v_add_f64 v[10:11], v[42:43], v[44:45]
	v_fma_f64 v[56:57], v[12:13], v[14:15], -v[16:17]
	v_add_f64 v[12:13], v[32:33], v[42:43]
	v_add_f64 v[14:15], v[30:31], v[38:39]
	v_fma_f64 v[16:17], v[24:25], -0.5, v[30:31]
	v_add_f64 v[22:23], v[42:43], -v[44:45]
	v_add_f64 v[30:31], v[46:47], v[34:35]
	v_fma_f64 v[24:25], v[10:11], -0.5, v[32:33]
	v_add_f64 v[32:33], v[48:49], v[36:37]
	v_add_f64 v[12:13], v[12:13], v[44:45]
	;; [unrolled: 1-line block ×3, first 2 shown]
	v_add_f64 v[40:41], v[46:47], -v[34:35]
	v_fma_f64 v[14:15], v[22:23], s[0:1], v[16:17]
	v_fma_f64 v[22:23], v[22:23], s[14:15], v[16:17]
	s_waitcnt lgkmcnt(0)
	v_fma_f64 v[30:31], v[30:31], -0.5, v[18:19]
	v_fma_f64 v[16:17], v[26:27], s[14:15], v[24:25]
	v_fma_f64 v[24:25], v[26:27], s[0:1], v[24:25]
	v_mul_u32_u24_e32 v26, 0x51, v58
	v_add_lshl_u32 v38, v26, v59, 7
	v_add3_u32 v42, 0, v38, v1
	v_add_f64 v[38:39], v[20:21], v[48:49]
	v_add_f64 v[18:19], v[18:19], v[46:47]
	v_fma_f64 v[20:21], v[32:33], -0.5, v[20:21]
	v_add_f64 v[32:33], v[48:49], -v[36:37]
	ds_read2_b64 v[26:29], v8 offset1:1
	s_waitcnt lgkmcnt(0)
	s_barrier
	ds_write_b128 v42, v[10:13]
	ds_write_b128 v42, v[14:17] offset:3456
	ds_write_b128 v42, v[22:25] offset:6912
	v_add_f64 v[22:23], v[50:51], v[54:55]
	v_add_f64 v[24:25], v[52:53], v[56:57]
	v_add_f64 v[10:11], v[18:19], v[34:35]
	v_fma_f64 v[14:15], v[32:33], s[0:1], v[30:31]
	v_fma_f64 v[18:19], v[32:33], s[14:15], v[30:31]
	v_mul_u32_u24_e32 v30, 0x51, v60
	v_add_f64 v[12:13], v[38:39], v[36:37]
	v_add_lshl_u32 v34, v30, v61, 7
	v_fma_f64 v[22:23], v[22:23], -0.5, v[26:27]
	v_add_f64 v[30:31], v[28:29], v[52:53]
	v_add_f64 v[26:27], v[26:27], v[50:51]
	v_add_f64 v[32:33], v[52:53], -v[56:57]
	v_fma_f64 v[24:25], v[24:25], -0.5, v[28:29]
	v_add_f64 v[28:29], v[50:51], -v[54:55]
	v_fma_f64 v[16:17], v[40:41], s[14:15], v[20:21]
	v_fma_f64 v[20:21], v[40:41], s[0:1], v[20:21]
	v_add3_u32 v34, 0, v34, v1
	ds_write_b128 v34, v[10:13]
	ds_write_b128 v34, v[14:17] offset:3456
	v_add_f64 v[12:13], v[30:31], v[56:57]
	v_add_f64 v[10:11], v[26:27], v[54:55]
	v_fma_f64 v[14:15], v[32:33], s[0:1], v[22:23]
	v_fma_f64 v[16:17], v[28:29], s[14:15], v[24:25]
	;; [unrolled: 1-line block ×4, first 2 shown]
	ds_write_b128 v34, v[18:21] offset:6912
	v_mul_u32_u24_e32 v18, 0x51, v62
	v_add_lshl_u32 v18, v18, v63, 7
	v_add3_u32 v1, 0, v18, v1
	ds_write_b128 v1, v[10:13]
	ds_write_b128 v1, v[14:17] offset:3456
	ds_write_b128 v1, v[22:25] offset:6912
	v_add_u32_e32 v1, 0xffffffaf, v5
	v_cndmask_b32_e32 v54, v1, v5, vcc
	v_lshlrev_b32_e32 v1, 1, v54
	v_lshlrev_b64 v[10:11], 4, v[1:2]
	v_mov_b32_e32 v20, s9
	v_add_co_u32_e32 v18, vcc, s8, v10
	v_addc_co_u32_e32 v19, vcc, v20, v11, vcc
	s_waitcnt lgkmcnt(0)
	s_barrier
	global_load_dwordx4 v[10:13], v[18:19], off offset:1248
	global_load_dwordx4 v[14:17], v[18:19], off offset:1264
	v_subrev_u32_e32 v1, 54, v5
	v_cmp_gt_u32_e32 vcc, s12, v0
	v_cndmask_b32_e32 v1, v1, v7, vcc
	v_lshlrev_b32_e32 v1, 1, v1
	v_lshlrev_b64 v[18:19], 4, v[1:2]
	v_mul_lo_u16_e32 v1, 51, v6
	v_add_co_u32_e32 v26, vcc, s8, v18
	v_addc_co_u32_e32 v27, vcc, v20, v19, vcc
	global_load_dwordx4 v[18:21], v[26:27], off offset:1248
	global_load_dwordx4 v[22:25], v[26:27], off offset:1264
	v_lshrrev_b16_e32 v55, 12, v1
	v_mul_lo_u16_e32 v1, 0x51, v55
	v_sub_u16_e32 v1, v6, v1
	v_lshlrev_b16_e32 v1, 1, v1
	v_and_b32_e32 v1, 0xfe, v1
	v_lshlrev_b32_e32 v1, 4, v1
	global_load_dwordx4 v[26:29], v1, s[8:9] offset:1248
	global_load_dwordx4 v[30:33], v1, s[8:9] offset:1264
	ds_read_b128 v[34:37], v4 offset:10368
	ds_read_b128 v[38:41], v4
	ds_read_b128 v[42:45], v4 offset:20736
	ds_read_b128 v[46:49], v4 offset:24192
	s_mul_i32 s12, s22, s6
	s_waitcnt vmcnt(5) lgkmcnt(3)
	v_mul_f64 v[50:51], v[36:37], v[12:13]
	v_mul_f64 v[12:13], v[34:35], v[12:13]
	s_waitcnt vmcnt(4) lgkmcnt(1)
	v_mul_f64 v[52:53], v[44:45], v[16:17]
	v_mul_f64 v[16:17], v[42:43], v[16:17]
	v_fma_f64 v[34:35], v[34:35], v[10:11], v[50:51]
	v_fma_f64 v[36:37], v[36:37], v[10:11], -v[12:13]
	ds_read_b128 v[10:13], v4 offset:13824
	v_fma_f64 v[42:43], v[42:43], v[14:15], v[52:53]
	v_fma_f64 v[44:45], v[44:45], v[14:15], -v[16:17]
	ds_read_b128 v[14:17], v4 offset:17280
	s_waitcnt vmcnt(3) lgkmcnt(1)
	v_mul_f64 v[50:51], v[12:13], v[20:21]
	v_mul_f64 v[20:21], v[10:11], v[20:21]
	v_fma_f64 v[50:51], v[10:11], v[18:19], v[50:51]
	s_waitcnt vmcnt(2)
	v_mul_f64 v[10:11], v[48:49], v[24:25]
	v_fma_f64 v[52:53], v[12:13], v[18:19], -v[20:21]
	v_mul_f64 v[18:19], v[46:47], v[24:25]
	s_waitcnt vmcnt(1) lgkmcnt(0)
	v_mul_f64 v[20:21], v[16:17], v[28:29]
	v_mul_f64 v[24:25], v[14:15], v[28:29]
	v_fma_f64 v[28:29], v[46:47], v[22:23], v[10:11]
	ds_read_b128 v[10:13], v4 offset:27648
	v_fma_f64 v[4:5], v[48:49], v[22:23], -v[18:19]
	v_fma_f64 v[22:23], v[14:15], v[26:27], v[20:21]
	v_fma_f64 v[24:25], v[16:17], v[26:27], -v[24:25]
	v_add_f64 v[26:27], v[38:39], v[34:35]
	s_waitcnt vmcnt(0) lgkmcnt(0)
	v_mul_f64 v[18:19], v[12:13], v[32:33]
	v_mul_f64 v[20:21], v[10:11], v[32:33]
	v_mad_u64_u32 v[32:33], s[8:9], s4, v3, 0
	ds_read_b128 v[14:17], v9
	v_add_f64 v[46:47], v[40:41], v[36:37]
	v_mov_b32_e32 v1, v33
	v_fma_f64 v[48:49], v[10:11], v[30:31], v[18:19]
	v_mad_u64_u32 v[18:19], s[4:5], s5, v3, v[1:2]
	s_lshl_b64 s[4:5], s[10:11], 4
	v_fma_f64 v[30:31], v[12:13], v[30:31], -v[20:21]
	v_add_f64 v[9:10], v[26:27], v[42:43]
	s_add_u32 s4, s2, s4
	v_add_f64 v[20:21], v[34:35], v[42:43]
	v_add_f64 v[26:27], v[36:37], v[44:45]
	s_addc_u32 s5, s3, s5
	s_lshl_b64 s[2:3], s[12:13], 4
	s_add_u32 s2, s4, s2
	s_addc_u32 s3, s5, s3
	v_mov_b32_e32 v3, s3
	s_movk_i32 s3, 0x287
	v_mov_b32_e32 v1, 0xf3
	v_cmp_lt_u32_e32 vcc, s3, v0
	v_cndmask_b32_e32 v1, 0, v1, vcc
	v_mov_b32_e32 v33, v18
	v_add_u32_e32 v1, v54, v1
	v_add_f64 v[11:12], v[46:47], v[44:45]
	v_lshlrev_b64 v[18:19], 4, v[32:33]
	v_mul_lo_u32 v1, v1, s7
	v_fma_f64 v[20:21], v[20:21], -0.5, v[38:39]
	v_fma_f64 v[26:27], v[26:27], -0.5, v[40:41]
	v_add_f64 v[32:33], v[36:37], -v[44:45]
	v_add_f64 v[34:35], v[34:35], -v[42:43]
	v_add_co_u32_e32 v46, vcc, s2, v18
	v_addc_co_u32_e32 v47, vcc, v3, v19, vcc
	v_lshlrev_b64 v[18:19], 4, v[1:2]
	s_mul_i32 s2, s7, 0x51
	v_add_co_u32_e32 v18, vcc, v46, v18
	v_addc_co_u32_e32 v19, vcc, v47, v19, vcc
	global_store_dwordx4 v[18:19], v[9:12], off
	v_add_u32_e32 v1, s2, v1
	v_fma_f64 v[9:10], v[32:33], s[0:1], v[20:21]
	v_fma_f64 v[11:12], v[34:35], s[14:15], v[26:27]
	v_lshlrev_b64 v[18:19], 4, v[1:2]
	v_add_u32_e32 v1, s2, v1
	v_add_co_u32_e32 v36, vcc, v46, v18
	v_addc_co_u32_e32 v37, vcc, v47, v19, vcc
	v_fma_f64 v[18:19], v[32:33], s[14:15], v[20:21]
	v_fma_f64 v[20:21], v[34:35], s[0:1], v[26:27]
	global_store_dwordx4 v[36:37], v[9:12], off
	s_movk_i32 s3, 0x1af
	v_lshlrev_b64 v[9:10], 4, v[1:2]
	s_waitcnt lgkmcnt(0)
	v_add_f64 v[11:12], v[16:17], v[52:53]
	v_add_co_u32_e32 v9, vcc, v46, v9
	v_addc_co_u32_e32 v10, vcc, v47, v10, vcc
	global_store_dwordx4 v[9:10], v[18:21], off
	v_add_f64 v[9:10], v[14:15], v[50:51]
	v_add_f64 v[18:19], v[50:51], v[28:29]
	;; [unrolled: 1-line block ×3, first 2 shown]
	v_add_f64 v[26:27], v[52:53], -v[4:5]
	v_mov_b32_e32 v1, 0xa2
	v_cmp_lt_u32_e32 vcc, s3, v0
	v_cndmask_b32_e32 v0, 0, v1, vcc
	v_add_u32_e32 v0, v0, v7
	v_add_f64 v[9:10], v[9:10], v[28:29]
	v_fma_f64 v[18:19], v[18:19], -0.5, v[14:15]
	v_fma_f64 v[20:21], v[20:21], -0.5, v[16:17]
	v_add_f64 v[28:29], v[50:51], -v[28:29]
	v_mul_lo_u32 v1, v0, s7
	v_add_f64 v[11:12], v[11:12], v[4:5]
	s_movk_i32 s3, 0xa2
	v_lshlrev_b64 v[3:4], 4, v[1:2]
	v_fma_f64 v[13:14], v[26:27], s[0:1], v[18:19]
	v_add_co_u32_e32 v3, vcc, v46, v3
	v_fma_f64 v[15:16], v[28:29], s[14:15], v[20:21]
	v_addc_co_u32_e32 v4, vcc, v47, v4, vcc
	v_add_u32_e32 v1, s2, v1
	global_store_dwordx4 v[3:4], v[9:12], off
	v_lshlrev_b64 v[3:4], 4, v[1:2]
	v_fma_f64 v[9:10], v[26:27], s[14:15], v[18:19]
	v_add_co_u32_e32 v3, vcc, v46, v3
	v_addc_co_u32_e32 v4, vcc, v47, v4, vcc
	global_store_dwordx4 v[3:4], v[13:16], off
	ds_read2_b64 v[13:16], v8 offset1:1
	v_fma_f64 v[11:12], v[28:29], s[0:1], v[20:21]
	v_add_f64 v[3:4], v[22:23], v[48:49]
	v_add_f64 v[7:8], v[24:25], v[30:31]
	v_add_u32_e32 v1, s2, v1
	v_lshlrev_b64 v[0:1], 4, v[1:2]
	s_waitcnt lgkmcnt(0)
	v_add_f64 v[17:18], v[15:16], v[24:25]
	v_add_f64 v[19:20], v[13:14], v[22:23]
	v_add_co_u32_e32 v0, vcc, v46, v0
	v_addc_co_u32_e32 v1, vcc, v47, v1, vcc
	global_store_dwordx4 v[0:1], v[9:12], off
	v_fma_f64 v[15:16], v[7:8], -0.5, v[15:16]
	v_fma_f64 v[11:12], v[3:4], -0.5, v[13:14]
	v_add_f64 v[13:14], v[24:25], -v[30:31]
	v_add_f64 v[21:22], v[22:23], -v[48:49]
	v_mad_u32_u24 v0, v55, s3, v6
	v_add_f64 v[9:10], v[17:18], v[30:31]
	v_add_f64 v[7:8], v[19:20], v[48:49]
	v_mul_lo_u32 v1, v0, s7
	v_fma_f64 v[3:4], v[13:14], s[0:1], v[11:12]
	v_fma_f64 v[11:12], v[13:14], s[14:15], v[11:12]
	;; [unrolled: 1-line block ×4, first 2 shown]
	v_lshlrev_b64 v[15:16], 4, v[1:2]
	v_add_u32_e32 v1, s2, v1
	v_add_co_u32_e32 v15, vcc, v46, v15
	v_addc_co_u32_e32 v16, vcc, v47, v16, vcc
	global_store_dwordx4 v[15:16], v[7:10], off
	s_nop 0
	v_lshlrev_b64 v[7:8], 4, v[1:2]
	v_add_u32_e32 v1, s2, v1
	v_add_co_u32_e32 v7, vcc, v46, v7
	v_lshlrev_b64 v[0:1], 4, v[1:2]
	v_addc_co_u32_e32 v8, vcc, v47, v8, vcc
	v_add_co_u32_e32 v0, vcc, v46, v0
	v_addc_co_u32_e32 v1, vcc, v47, v1, vcc
	global_store_dwordx4 v[7:8], v[3:6], off
	global_store_dwordx4 v[0:1], v[11:14], off
	s_endpgm
	.section	.rodata,"a",@progbits
	.p2align	6, 0x0
	.amdhsa_kernel fft_rtc_back_len243_factors_3_3_3_3_3_wgs_216_tpt_27_dp_op_CI_CI_sbrc_z_xy_diag_dirReg
		.amdhsa_group_segment_fixed_size 0
		.amdhsa_private_segment_fixed_size 0
		.amdhsa_kernarg_size 104
		.amdhsa_user_sgpr_count 6
		.amdhsa_user_sgpr_private_segment_buffer 1
		.amdhsa_user_sgpr_dispatch_ptr 0
		.amdhsa_user_sgpr_queue_ptr 0
		.amdhsa_user_sgpr_kernarg_segment_ptr 1
		.amdhsa_user_sgpr_dispatch_id 0
		.amdhsa_user_sgpr_flat_scratch_init 0
		.amdhsa_user_sgpr_private_segment_size 0
		.amdhsa_uses_dynamic_stack 0
		.amdhsa_system_sgpr_private_segment_wavefront_offset 0
		.amdhsa_system_sgpr_workgroup_id_x 1
		.amdhsa_system_sgpr_workgroup_id_y 0
		.amdhsa_system_sgpr_workgroup_id_z 0
		.amdhsa_system_sgpr_workgroup_info 0
		.amdhsa_system_vgpr_workitem_id 0
		.amdhsa_next_free_vgpr 65
		.amdhsa_next_free_sgpr 24
		.amdhsa_reserve_vcc 1
		.amdhsa_reserve_flat_scratch 0
		.amdhsa_float_round_mode_32 0
		.amdhsa_float_round_mode_16_64 0
		.amdhsa_float_denorm_mode_32 3
		.amdhsa_float_denorm_mode_16_64 3
		.amdhsa_dx10_clamp 1
		.amdhsa_ieee_mode 1
		.amdhsa_fp16_overflow 0
		.amdhsa_exception_fp_ieee_invalid_op 0
		.amdhsa_exception_fp_denorm_src 0
		.amdhsa_exception_fp_ieee_div_zero 0
		.amdhsa_exception_fp_ieee_overflow 0
		.amdhsa_exception_fp_ieee_underflow 0
		.amdhsa_exception_fp_ieee_inexact 0
		.amdhsa_exception_int_div_zero 0
	.end_amdhsa_kernel
	.text
.Lfunc_end0:
	.size	fft_rtc_back_len243_factors_3_3_3_3_3_wgs_216_tpt_27_dp_op_CI_CI_sbrc_z_xy_diag_dirReg, .Lfunc_end0-fft_rtc_back_len243_factors_3_3_3_3_3_wgs_216_tpt_27_dp_op_CI_CI_sbrc_z_xy_diag_dirReg
                                        ; -- End function
	.section	.AMDGPU.csdata,"",@progbits
; Kernel info:
; codeLenInByte = 6212
; NumSgprs: 28
; NumVgprs: 65
; ScratchSize: 0
; MemoryBound: 0
; FloatMode: 240
; IeeeMode: 1
; LDSByteSize: 0 bytes/workgroup (compile time only)
; SGPRBlocks: 3
; VGPRBlocks: 16
; NumSGPRsForWavesPerEU: 28
; NumVGPRsForWavesPerEU: 65
; Occupancy: 3
; WaveLimiterHint : 1
; COMPUTE_PGM_RSRC2:SCRATCH_EN: 0
; COMPUTE_PGM_RSRC2:USER_SGPR: 6
; COMPUTE_PGM_RSRC2:TRAP_HANDLER: 0
; COMPUTE_PGM_RSRC2:TGID_X_EN: 1
; COMPUTE_PGM_RSRC2:TGID_Y_EN: 0
; COMPUTE_PGM_RSRC2:TGID_Z_EN: 0
; COMPUTE_PGM_RSRC2:TIDIG_COMP_CNT: 0
	.type	__hip_cuid_911ebd927bfc89b0,@object ; @__hip_cuid_911ebd927bfc89b0
	.section	.bss,"aw",@nobits
	.globl	__hip_cuid_911ebd927bfc89b0
__hip_cuid_911ebd927bfc89b0:
	.byte	0                               ; 0x0
	.size	__hip_cuid_911ebd927bfc89b0, 1

	.ident	"AMD clang version 19.0.0git (https://github.com/RadeonOpenCompute/llvm-project roc-6.4.0 25133 c7fe45cf4b819c5991fe208aaa96edf142730f1d)"
	.section	".note.GNU-stack","",@progbits
	.addrsig
	.addrsig_sym __hip_cuid_911ebd927bfc89b0
	.amdgpu_metadata
---
amdhsa.kernels:
  - .args:
      - .actual_access:  read_only
        .address_space:  global
        .offset:         0
        .size:           8
        .value_kind:     global_buffer
      - .offset:         8
        .size:           8
        .value_kind:     by_value
      - .actual_access:  read_only
        .address_space:  global
        .offset:         16
        .size:           8
        .value_kind:     global_buffer
      - .actual_access:  read_only
        .address_space:  global
        .offset:         24
        .size:           8
        .value_kind:     global_buffer
      - .actual_access:  read_only
        .address_space:  global
        .offset:         32
        .size:           8
        .value_kind:     global_buffer
      - .offset:         40
        .size:           8
        .value_kind:     by_value
      - .actual_access:  read_only
        .address_space:  global
        .offset:         48
        .size:           8
        .value_kind:     global_buffer
      - .actual_access:  read_only
        .address_space:  global
        .offset:         56
        .size:           8
        .value_kind:     global_buffer
      - .offset:         64
        .size:           4
        .value_kind:     by_value
      - .actual_access:  read_only
        .address_space:  global
        .offset:         72
        .size:           8
        .value_kind:     global_buffer
      - .actual_access:  read_only
        .address_space:  global
        .offset:         80
        .size:           8
        .value_kind:     global_buffer
      - .actual_access:  read_only
        .address_space:  global
        .offset:         88
        .size:           8
        .value_kind:     global_buffer
      - .actual_access:  write_only
        .address_space:  global
        .offset:         96
        .size:           8
        .value_kind:     global_buffer
    .group_segment_fixed_size: 0
    .kernarg_segment_align: 8
    .kernarg_segment_size: 104
    .language:       OpenCL C
    .language_version:
      - 2
      - 0
    .max_flat_workgroup_size: 216
    .name:           fft_rtc_back_len243_factors_3_3_3_3_3_wgs_216_tpt_27_dp_op_CI_CI_sbrc_z_xy_diag_dirReg
    .private_segment_fixed_size: 0
    .sgpr_count:     28
    .sgpr_spill_count: 0
    .symbol:         fft_rtc_back_len243_factors_3_3_3_3_3_wgs_216_tpt_27_dp_op_CI_CI_sbrc_z_xy_diag_dirReg.kd
    .uniform_work_group_size: 1
    .uses_dynamic_stack: false
    .vgpr_count:     65
    .vgpr_spill_count: 0
    .wavefront_size: 64
amdhsa.target:   amdgcn-amd-amdhsa--gfx906
amdhsa.version:
  - 1
  - 2
...

	.end_amdgpu_metadata
